;; amdgpu-corpus repo=ROCm/rocFFT kind=compiled arch=gfx1030 opt=O3
	.text
	.amdgcn_target "amdgcn-amd-amdhsa--gfx1030"
	.amdhsa_code_object_version 6
	.protected	fft_rtc_fwd_len784_factors_2_2_2_2_7_7_wgs_56_tpt_56_halfLds_dp_op_CI_CI_sbrr_dirReg ; -- Begin function fft_rtc_fwd_len784_factors_2_2_2_2_7_7_wgs_56_tpt_56_halfLds_dp_op_CI_CI_sbrr_dirReg
	.globl	fft_rtc_fwd_len784_factors_2_2_2_2_7_7_wgs_56_tpt_56_halfLds_dp_op_CI_CI_sbrr_dirReg
	.p2align	8
	.type	fft_rtc_fwd_len784_factors_2_2_2_2_7_7_wgs_56_tpt_56_halfLds_dp_op_CI_CI_sbrr_dirReg,@function
fft_rtc_fwd_len784_factors_2_2_2_2_7_7_wgs_56_tpt_56_halfLds_dp_op_CI_CI_sbrr_dirReg: ; @fft_rtc_fwd_len784_factors_2_2_2_2_7_7_wgs_56_tpt_56_halfLds_dp_op_CI_CI_sbrr_dirReg
; %bb.0:
	s_clause 0x2
	s_load_dwordx4 s[16:19], s[4:5], 0x18
	s_load_dwordx4 s[12:15], s[4:5], 0x0
	;; [unrolled: 1-line block ×3, first 2 shown]
	v_mul_u32_u24_e32 v2, 0x493, v0
	v_mov_b32_e32 v1, 0
	v_mov_b32_e32 v4, 0
	;; [unrolled: 1-line block ×3, first 2 shown]
	s_waitcnt lgkmcnt(0)
	s_load_dwordx2 s[20:21], s[16:17], 0x0
	s_load_dwordx2 s[2:3], s[18:19], 0x0
	v_cmp_lt_u64_e64 s0, s[14:15], 2
	v_add_nc_u32_sdwa v6, s6, v2 dst_sel:DWORD dst_unused:UNUSED_PAD src0_sel:DWORD src1_sel:WORD_1
	v_mov_b32_e32 v7, v1
	s_and_b32 vcc_lo, exec_lo, s0
	s_cbranch_vccnz .LBB0_8
; %bb.1:
	s_load_dwordx2 s[0:1], s[4:5], 0x10
	v_mov_b32_e32 v4, 0
	v_mov_b32_e32 v5, 0
	s_add_u32 s6, s18, 8
	s_addc_u32 s7, s19, 0
	s_add_u32 s22, s16, 8
	s_addc_u32 s23, s17, 0
	v_mov_b32_e32 v61, v5
	v_mov_b32_e32 v60, v4
	s_mov_b64 s[26:27], 1
	s_waitcnt lgkmcnt(0)
	s_add_u32 s24, s0, 8
	s_addc_u32 s25, s1, 0
.LBB0_2:                                ; =>This Inner Loop Header: Depth=1
	s_load_dwordx2 s[28:29], s[24:25], 0x0
                                        ; implicit-def: $vgpr62_vgpr63
	s_mov_b32 s0, exec_lo
	s_waitcnt lgkmcnt(0)
	v_or_b32_e32 v2, s29, v7
	v_cmpx_ne_u64_e32 0, v[1:2]
	s_xor_b32 s1, exec_lo, s0
	s_cbranch_execz .LBB0_4
; %bb.3:                                ;   in Loop: Header=BB0_2 Depth=1
	v_cvt_f32_u32_e32 v2, s28
	v_cvt_f32_u32_e32 v3, s29
	s_sub_u32 s0, 0, s28
	s_subb_u32 s30, 0, s29
	v_fmac_f32_e32 v2, 0x4f800000, v3
	v_rcp_f32_e32 v2, v2
	v_mul_f32_e32 v2, 0x5f7ffffc, v2
	v_mul_f32_e32 v3, 0x2f800000, v2
	v_trunc_f32_e32 v3, v3
	v_fmac_f32_e32 v2, 0xcf800000, v3
	v_cvt_u32_f32_e32 v3, v3
	v_cvt_u32_f32_e32 v2, v2
	v_mul_lo_u32 v8, s0, v3
	v_mul_hi_u32 v9, s0, v2
	v_mul_lo_u32 v10, s30, v2
	v_add_nc_u32_e32 v8, v9, v8
	v_mul_lo_u32 v9, s0, v2
	v_add_nc_u32_e32 v8, v8, v10
	v_mul_hi_u32 v10, v2, v9
	v_mul_lo_u32 v11, v2, v8
	v_mul_hi_u32 v12, v2, v8
	v_mul_hi_u32 v13, v3, v9
	v_mul_lo_u32 v9, v3, v9
	v_mul_hi_u32 v14, v3, v8
	v_mul_lo_u32 v8, v3, v8
	v_add_co_u32 v10, vcc_lo, v10, v11
	v_add_co_ci_u32_e32 v11, vcc_lo, 0, v12, vcc_lo
	v_add_co_u32 v9, vcc_lo, v10, v9
	v_add_co_ci_u32_e32 v9, vcc_lo, v11, v13, vcc_lo
	v_add_co_ci_u32_e32 v10, vcc_lo, 0, v14, vcc_lo
	v_add_co_u32 v8, vcc_lo, v9, v8
	v_add_co_ci_u32_e32 v9, vcc_lo, 0, v10, vcc_lo
	v_add_co_u32 v2, vcc_lo, v2, v8
	v_add_co_ci_u32_e32 v3, vcc_lo, v3, v9, vcc_lo
	v_mul_hi_u32 v8, s0, v2
	v_mul_lo_u32 v10, s30, v2
	v_mul_lo_u32 v9, s0, v3
	v_add_nc_u32_e32 v8, v8, v9
	v_mul_lo_u32 v9, s0, v2
	v_add_nc_u32_e32 v8, v8, v10
	v_mul_hi_u32 v10, v2, v9
	v_mul_lo_u32 v11, v2, v8
	v_mul_hi_u32 v12, v2, v8
	v_mul_hi_u32 v13, v3, v9
	v_mul_lo_u32 v9, v3, v9
	v_mul_hi_u32 v14, v3, v8
	v_mul_lo_u32 v8, v3, v8
	v_add_co_u32 v10, vcc_lo, v10, v11
	v_add_co_ci_u32_e32 v11, vcc_lo, 0, v12, vcc_lo
	v_add_co_u32 v9, vcc_lo, v10, v9
	v_add_co_ci_u32_e32 v9, vcc_lo, v11, v13, vcc_lo
	v_add_co_ci_u32_e32 v10, vcc_lo, 0, v14, vcc_lo
	v_add_co_u32 v8, vcc_lo, v9, v8
	v_add_co_ci_u32_e32 v9, vcc_lo, 0, v10, vcc_lo
	v_add_co_u32 v8, vcc_lo, v2, v8
	v_add_co_ci_u32_e32 v10, vcc_lo, v3, v9, vcc_lo
	v_mul_hi_u32 v12, v6, v8
	v_mad_u64_u32 v[8:9], null, v7, v8, 0
	v_mad_u64_u32 v[2:3], null, v6, v10, 0
	v_mad_u64_u32 v[10:11], null, v7, v10, 0
	v_add_co_u32 v2, vcc_lo, v12, v2
	v_add_co_ci_u32_e32 v3, vcc_lo, 0, v3, vcc_lo
	v_add_co_u32 v2, vcc_lo, v2, v8
	v_add_co_ci_u32_e32 v2, vcc_lo, v3, v9, vcc_lo
	v_add_co_ci_u32_e32 v3, vcc_lo, 0, v11, vcc_lo
	v_add_co_u32 v8, vcc_lo, v2, v10
	v_add_co_ci_u32_e32 v9, vcc_lo, 0, v3, vcc_lo
	v_mul_lo_u32 v10, s29, v8
	v_mad_u64_u32 v[2:3], null, s28, v8, 0
	v_mul_lo_u32 v11, s28, v9
	v_sub_co_u32 v2, vcc_lo, v6, v2
	v_add3_u32 v3, v3, v11, v10
	v_sub_nc_u32_e32 v10, v7, v3
	v_subrev_co_ci_u32_e64 v10, s0, s29, v10, vcc_lo
	v_add_co_u32 v11, s0, v8, 2
	v_add_co_ci_u32_e64 v12, s0, 0, v9, s0
	v_sub_co_u32 v13, s0, v2, s28
	v_sub_co_ci_u32_e32 v3, vcc_lo, v7, v3, vcc_lo
	v_subrev_co_ci_u32_e64 v10, s0, 0, v10, s0
	v_cmp_le_u32_e32 vcc_lo, s28, v13
	v_cmp_eq_u32_e64 s0, s29, v3
	v_cndmask_b32_e64 v13, 0, -1, vcc_lo
	v_cmp_le_u32_e32 vcc_lo, s29, v10
	v_cndmask_b32_e64 v14, 0, -1, vcc_lo
	v_cmp_le_u32_e32 vcc_lo, s28, v2
	;; [unrolled: 2-line block ×3, first 2 shown]
	v_cndmask_b32_e64 v15, 0, -1, vcc_lo
	v_cmp_eq_u32_e32 vcc_lo, s29, v10
	v_cndmask_b32_e64 v2, v15, v2, s0
	v_cndmask_b32_e32 v10, v14, v13, vcc_lo
	v_add_co_u32 v13, vcc_lo, v8, 1
	v_add_co_ci_u32_e32 v14, vcc_lo, 0, v9, vcc_lo
	v_cmp_ne_u32_e32 vcc_lo, 0, v10
	v_cndmask_b32_e32 v3, v14, v12, vcc_lo
	v_cndmask_b32_e32 v10, v13, v11, vcc_lo
	v_cmp_ne_u32_e32 vcc_lo, 0, v2
	v_cndmask_b32_e32 v63, v9, v3, vcc_lo
	v_cndmask_b32_e32 v62, v8, v10, vcc_lo
.LBB0_4:                                ;   in Loop: Header=BB0_2 Depth=1
	s_andn2_saveexec_b32 s0, s1
	s_cbranch_execz .LBB0_6
; %bb.5:                                ;   in Loop: Header=BB0_2 Depth=1
	v_cvt_f32_u32_e32 v2, s28
	s_sub_i32 s1, 0, s28
	v_mov_b32_e32 v63, v1
	v_rcp_iflag_f32_e32 v2, v2
	v_mul_f32_e32 v2, 0x4f7ffffe, v2
	v_cvt_u32_f32_e32 v2, v2
	v_mul_lo_u32 v3, s1, v2
	v_mul_hi_u32 v3, v2, v3
	v_add_nc_u32_e32 v2, v2, v3
	v_mul_hi_u32 v2, v6, v2
	v_mul_lo_u32 v3, v2, s28
	v_add_nc_u32_e32 v8, 1, v2
	v_sub_nc_u32_e32 v3, v6, v3
	v_subrev_nc_u32_e32 v9, s28, v3
	v_cmp_le_u32_e32 vcc_lo, s28, v3
	v_cndmask_b32_e32 v3, v3, v9, vcc_lo
	v_cndmask_b32_e32 v2, v2, v8, vcc_lo
	v_cmp_le_u32_e32 vcc_lo, s28, v3
	v_add_nc_u32_e32 v8, 1, v2
	v_cndmask_b32_e32 v62, v2, v8, vcc_lo
.LBB0_6:                                ;   in Loop: Header=BB0_2 Depth=1
	s_or_b32 exec_lo, exec_lo, s0
	v_mul_lo_u32 v8, v63, s28
	v_mul_lo_u32 v9, v62, s29
	s_load_dwordx2 s[0:1], s[22:23], 0x0
	v_mad_u64_u32 v[2:3], null, v62, s28, 0
	s_load_dwordx2 s[28:29], s[6:7], 0x0
	s_add_u32 s26, s26, 1
	s_addc_u32 s27, s27, 0
	s_add_u32 s6, s6, 8
	s_addc_u32 s7, s7, 0
	s_add_u32 s22, s22, 8
	v_add3_u32 v3, v3, v9, v8
	v_sub_co_u32 v2, vcc_lo, v6, v2
	s_addc_u32 s23, s23, 0
	s_add_u32 s24, s24, 8
	v_sub_co_ci_u32_e32 v3, vcc_lo, v7, v3, vcc_lo
	s_addc_u32 s25, s25, 0
	s_waitcnt lgkmcnt(0)
	v_mul_lo_u32 v6, s0, v3
	v_mul_lo_u32 v7, s1, v2
	v_mad_u64_u32 v[4:5], null, s0, v2, v[4:5]
	v_mul_lo_u32 v3, s28, v3
	v_mul_lo_u32 v8, s29, v2
	v_mad_u64_u32 v[60:61], null, s28, v2, v[60:61]
	v_cmp_ge_u64_e64 s0, s[26:27], s[14:15]
	v_add3_u32 v5, v7, v5, v6
	v_add3_u32 v61, v8, v61, v3
	s_and_b32 vcc_lo, exec_lo, s0
	s_cbranch_vccnz .LBB0_9
; %bb.7:                                ;   in Loop: Header=BB0_2 Depth=1
	v_mov_b32_e32 v6, v62
	v_mov_b32_e32 v7, v63
	s_branch .LBB0_2
.LBB0_8:
	v_mov_b32_e32 v61, v5
	v_mov_b32_e32 v63, v7
	;; [unrolled: 1-line block ×4, first 2 shown]
.LBB0_9:
	s_load_dwordx2 s[0:1], s[4:5], 0x28
	v_mul_hi_u32 v1, 0x4924925, v0
	s_lshl_b64 s[6:7], s[14:15], 3
                                        ; implicit-def: $vgpr74
                                        ; implicit-def: $vgpr56
                                        ; implicit-def: $vgpr57
                                        ; implicit-def: $vgpr58
                                        ; implicit-def: $vgpr59
                                        ; implicit-def: $vgpr64
                                        ; implicit-def: $vgpr65
	s_add_u32 s4, s18, s6
	s_addc_u32 s5, s19, s7
	s_waitcnt lgkmcnt(0)
	v_cmp_gt_u64_e32 vcc_lo, s[0:1], v[62:63]
	v_cmp_le_u64_e64 s0, s[0:1], v[62:63]
	s_and_saveexec_b32 s1, s0
	s_xor_b32 s0, exec_lo, s1
; %bb.10:
	v_mul_u32_u24_e32 v1, 56, v1
                                        ; implicit-def: $vgpr4_vgpr5
	v_sub_nc_u32_e32 v74, v0, v1
                                        ; implicit-def: $vgpr1
                                        ; implicit-def: $vgpr0
	v_add_nc_u32_e32 v56, 56, v74
	v_add_nc_u32_e32 v57, 0x70, v74
	;; [unrolled: 1-line block ×6, first 2 shown]
; %bb.11:
	s_or_saveexec_b32 s14, s0
                                        ; implicit-def: $vgpr46_vgpr47
                                        ; implicit-def: $vgpr30_vgpr31
                                        ; implicit-def: $vgpr50_vgpr51
                                        ; implicit-def: $vgpr34_vgpr35
                                        ; implicit-def: $vgpr54_vgpr55
                                        ; implicit-def: $vgpr38_vgpr39
                                        ; implicit-def: $vgpr42_vgpr43
                                        ; implicit-def: $vgpr26_vgpr27
                                        ; implicit-def: $vgpr22_vgpr23
                                        ; implicit-def: $vgpr10_vgpr11
                                        ; implicit-def: $vgpr14_vgpr15
                                        ; implicit-def: $vgpr2_vgpr3
                                        ; implicit-def: $vgpr18_vgpr19
                                        ; implicit-def: $vgpr6_vgpr7
	s_xor_b32 exec_lo, exec_lo, s14
	s_cbranch_execz .LBB0_13
; %bb.12:
	s_add_u32 s0, s16, s6
	s_addc_u32 s1, s17, s7
	v_mul_u32_u24_e32 v1, 56, v1
	s_load_dwordx2 s[0:1], s[0:1], 0x0
	v_sub_nc_u32_e32 v74, v0, v1
	v_lshlrev_b64 v[0:1], 4, v[4:5]
	v_add_nc_u32_e32 v14, 0x188, v74
	v_add_nc_u32_e32 v56, 56, v74
	v_mad_u64_u32 v[2:3], null, s20, v74, 0
	v_or_b32_e32 v15, 0x1c0, v74
	v_mad_u64_u32 v[4:5], null, s20, v14, 0
	v_mad_u64_u32 v[6:7], null, s20, v56, 0
	;; [unrolled: 1-line block ×3, first 2 shown]
	s_waitcnt lgkmcnt(0)
	v_mul_lo_u32 v16, s1, v62
	v_mul_lo_u32 v17, s0, v63
	v_mad_u64_u32 v[8:9], null, s0, v62, 0
	v_mad_u64_u32 v[12:13], null, s21, v74, v[3:4]
	v_mov_b32_e32 v3, v5
	v_mov_b32_e32 v5, v7
	;; [unrolled: 1-line block ×3, first 2 shown]
	v_add_nc_u32_e32 v57, 0x70, v74
	v_add3_u32 v9, v9, v17, v16
	v_mad_u64_u32 v[13:14], null, s21, v14, v[3:4]
	v_mov_b32_e32 v3, v12
	v_mad_u64_u32 v[11:12], null, s21, v56, v[5:6]
	v_lshlrev_b64 v[8:9], 4, v[8:9]
	v_mad_u64_u32 v[20:21], null, s20, v57, 0
	v_mov_b32_e32 v5, v13
	v_add_nc_u32_e32 v16, 0x1f8, v74
	v_lshlrev_b64 v[2:3], 4, v[2:3]
	v_mad_u64_u32 v[14:15], null, s21, v15, v[7:8]
	v_add_co_u32 v7, s0, s8, v8
	v_add_co_ci_u32_e64 v8, s0, s9, v9, s0
	v_add_nc_u32_e32 v58, 0xa8, v74
	v_add_co_u32 v50, s0, v7, v0
	v_mov_b32_e32 v7, v11
	v_add_co_ci_u32_e64 v51, s0, v8, v1, s0
	v_lshlrev_b64 v[0:1], 4, v[4:5]
	v_mov_b32_e32 v11, v14
	v_lshlrev_b64 v[5:6], 4, v[6:7]
	v_mov_b32_e32 v4, v21
	v_add_co_u32 v2, s0, v50, v2
	v_lshlrev_b64 v[7:8], 4, v[10:11]
	v_add_co_ci_u32_e64 v3, s0, v51, v3, s0
	v_mad_u64_u32 v[9:10], null, s21, v57, v[4:5]
	v_mad_u64_u32 v[10:11], null, s20, v16, 0
	v_add_co_u32 v0, s0, v50, v0
	v_add_co_ci_u32_e64 v1, s0, v51, v1, s0
	v_add_co_u32 v12, s0, v50, v5
	v_mov_b32_e32 v4, v11
	v_add_co_ci_u32_e64 v13, s0, v51, v6, s0
	v_add_co_u32 v14, s0, v50, v7
	v_add_nc_u32_e32 v28, 0x230, v74
	v_add_co_ci_u32_e64 v15, s0, v51, v8, s0
	v_mov_b32_e32 v21, v9
	v_mad_u64_u32 v[8:9], null, s20, v58, 0
	v_mad_u64_u32 v[22:23], null, s21, v16, v[4:5]
	;; [unrolled: 1-line block ×3, first 2 shown]
	v_add_nc_u32_e32 v59, 0xe0, v74
	v_lshlrev_b64 v[20:21], 4, v[20:21]
	v_add_nc_u32_e32 v36, 0x268, v74
	s_clause 0x3
	global_load_dwordx4 v[4:7], v[2:3], off
	global_load_dwordx4 v[16:19], v[0:1], off
	;; [unrolled: 1-line block ×4, first 2 shown]
	v_mov_b32_e32 v11, v22
	v_mad_u64_u32 v[22:23], null, s21, v58, v[9:10]
	v_mov_b32_e32 v23, v25
	v_mad_u64_u32 v[26:27], null, s20, v59, 0
	v_lshlrev_b64 v[10:11], 4, v[10:11]
	v_add_co_u32 v20, s0, v50, v20
	v_mov_b32_e32 v9, v22
	v_mad_u64_u32 v[22:23], null, s21, v28, v[23:24]
	v_mad_u64_u32 v[30:31], null, s20, v36, 0
	v_add_co_ci_u32_e64 v21, s0, v51, v21, s0
	v_add_co_u32 v28, s0, v50, v10
	v_mov_b32_e32 v10, v27
	v_add_co_ci_u32_e64 v29, s0, v51, v11, s0
	v_mov_b32_e32 v25, v22
	v_lshlrev_b64 v[32:33], 4, v[8:9]
	v_mad_u64_u32 v[34:35], null, s21, v59, v[10:11]
	s_clause 0x1
	global_load_dwordx4 v[8:11], v[20:21], off
	global_load_dwordx4 v[20:23], v[28:29], off
	v_mov_b32_e32 v28, v31
	v_lshlrev_b64 v[24:25], 4, v[24:25]
	v_add_co_u32 v32, s0, v50, v32
	v_add_nc_u32_e32 v64, 0x118, v74
	v_mad_u64_u32 v[28:29], null, s21, v36, v[28:29]
	v_mov_b32_e32 v27, v34
	v_add_co_ci_u32_e64 v33, s0, v51, v33, s0
	v_add_nc_u32_e32 v40, 0x2a0, v74
	v_add_co_u32 v34, s0, v50, v24
	v_add_co_ci_u32_e64 v35, s0, v51, v25, s0
	v_lshlrev_b64 v[24:25], 4, v[26:27]
	v_mov_b32_e32 v31, v28
	v_mad_u64_u32 v[28:29], null, s20, v64, 0
	v_mad_u64_u32 v[36:37], null, s20, v40, 0
	v_add_nc_u32_e32 v65, 0x150, v74
	v_add_co_u32 v38, s0, v50, v24
	v_add_co_ci_u32_e64 v39, s0, v51, v25, s0
	v_lshlrev_b64 v[25:26], 4, v[30:31]
	v_mov_b32_e32 v24, v29
	v_mad_u64_u32 v[44:45], null, s20, v65, 0
	v_mov_b32_e32 v27, v37
	v_add_nc_u32_e32 v52, 0x2d8, v74
	v_mad_u64_u32 v[29:30], null, s21, v64, v[24:25]
	v_add_co_u32 v48, s0, v50, v25
	v_mad_u64_u32 v[30:31], null, s21, v40, v[27:28]
	v_mad_u64_u32 v[46:47], null, s20, v52, 0
	v_mov_b32_e32 v24, v45
	v_add_co_ci_u32_e64 v49, s0, v51, v26, s0
	v_lshlrev_b64 v[28:29], 4, v[28:29]
	v_mov_b32_e32 v37, v30
	v_mad_u64_u32 v[30:31], null, s21, v65, v[24:25]
	v_mov_b32_e32 v31, v47
	s_clause 0x1
	global_load_dwordx4 v[24:27], v[32:33], off
	global_load_dwordx4 v[40:43], v[34:35], off
	v_add_co_u32 v28, s0, v50, v28
	v_add_co_ci_u32_e64 v29, s0, v51, v29, s0
	v_mad_u64_u32 v[31:32], null, s21, v52, v[31:32]
	v_lshlrev_b64 v[32:33], 4, v[36:37]
	v_mov_b32_e32 v45, v30
	v_mov_b32_e32 v47, v31
	v_lshlrev_b64 v[34:35], 4, v[44:45]
	v_add_co_u32 v30, s0, v50, v32
	v_add_co_ci_u32_e64 v31, s0, v51, v33, s0
	v_lshlrev_b64 v[32:33], 4, v[46:47]
	v_add_co_u32 v44, s0, v50, v34
	v_add_co_ci_u32_e64 v45, s0, v51, v35, s0
	v_add_co_u32 v46, s0, v50, v32
	v_add_co_ci_u32_e64 v47, s0, v51, v33, s0
	s_clause 0x5
	global_load_dwordx4 v[36:39], v[38:39], off
	global_load_dwordx4 v[52:55], v[48:49], off
	;; [unrolled: 1-line block ×6, first 2 shown]
.LBB0_13:
	s_or_b32 exec_lo, exec_lo, s14
	s_waitcnt vmcnt(12)
	v_add_f64 v[16:17], v[4:5], -v[16:17]
	s_waitcnt vmcnt(10)
	v_add_f64 v[68:69], v[0:1], -v[12:13]
	;; [unrolled: 2-line block ×3, first 2 shown]
	v_add_f64 v[87:88], v[6:7], -v[18:19]
	v_add_f64 v[12:13], v[10:11], -v[22:23]
	s_waitcnt vmcnt(0)
	v_add_f64 v[107:108], v[30:31], -v[46:47]
	v_add_f64 v[72:73], v[24:25], -v[40:41]
	;; [unrolled: 1-line block ×9, first 2 shown]
	v_lshl_add_u32 v77, v74, 4, 0
	v_lshlrev_b32_e32 v81, 3, v74
	v_and_b32_e32 v55, 1, v74
	v_lshl_add_u32 v78, v59, 4, 0
	v_lshlrev_b32_e32 v83, 3, v59
	v_lshl_add_u32 v79, v65, 4, 0
	v_lshlrev_b32_e32 v84, 3, v65
	v_lshl_add_u32 v75, v56, 4, 0
	v_fma_f64 v[14:15], v[4:5], 2.0, -v[16:17]
	v_fma_f64 v[66:67], v[0:1], 2.0, -v[68:69]
	;; [unrolled: 1-line block ×14, first 2 shown]
	v_lshl_add_u32 v4, v58, 4, 0
	v_lshlrev_b32_e32 v0, 3, v58
	v_sub_nc_u32_e32 v36, v77, v81
	v_lshl_add_u32 v5, v64, 4, 0
	v_lshlrev_b32_e32 v1, 3, v64
	v_lshl_add_u32 v76, v57, 4, 0
	v_lshlrev_b32_e32 v82, 3, v57
	v_lshlrev_b32_e32 v80, 3, v56
	v_sub_nc_u32_e32 v0, v4, v0
	v_lshlrev_b32_e32 v2, 4, v55
	v_add_nc_u32_e32 v37, 0x800, v36
	v_sub_nc_u32_e32 v40, v78, v83
	v_sub_nc_u32_e32 v1, v5, v1
	s_load_dwordx2 s[0:1], s[4:5], 0x0
	ds_write_b128 v77, v[14:17]
	ds_write_b128 v75, v[66:69]
	;; [unrolled: 1-line block ×7, first 2 shown]
	v_sub_nc_u32_e32 v42, v79, v84
	v_sub_nc_u32_e32 v38, v76, v82
	s_waitcnt lgkmcnt(0)
	s_barrier
	buffer_gl0_inv
	ds_read_b64 v[34:35], v36
	ds_read2_b64 v[14:17], v37 offset0:136 offset1:192
	v_sub_nc_u32_e32 v39, v75, v80
	v_add_nc_u32_e32 v9, 0xc00, v36
	v_add_nc_u32_e32 v41, 0x1000, v36
	ds_read_b64 v[47:48], v0
	ds_read_b64 v[49:50], v40
	;; [unrolled: 1-line block ×6, first 2 shown]
	ds_read_b64 v[70:71], v36 offset:5824
	ds_read2_b64 v[18:21], v9 offset0:120 offset1:176
	ds_read2_b64 v[22:25], v41 offset0:104 offset1:160
	s_waitcnt lgkmcnt(0)
	s_barrier
	buffer_gl0_inv
	ds_write_b128 v77, v[85:88]
	ds_write_b128 v75, v[89:92]
	ds_write_b128 v76, v[10:13]
	ds_write_b128 v4, v[93:96]
	ds_write_b128 v78, v[97:100]
	ds_write_b128 v5, v[101:104]
	ds_write_b128 v79, v[105:108]
	s_waitcnt lgkmcnt(0)
	s_barrier
	buffer_gl0_inv
	global_load_dwordx4 v[10:13], v2, s[12:13]
	ds_read2_b64 v[26:29], v37 offset0:136 offset1:192
	ds_read2_b64 v[30:33], v9 offset0:120 offset1:176
	;; [unrolled: 1-line block ×3, first 2 shown]
	ds_read_b64 v[72:73], v36 offset:5824
	v_lshlrev_b32_e32 v5, 1, v57
	v_lshlrev_b32_e32 v7, 1, v58
	ds_read_b64 v[89:90], v39
	ds_read_b64 v[91:92], v36
	;; [unrolled: 1-line block ×3, first 2 shown]
	v_lshlrev_b32_e32 v3, 1, v64
	v_lshlrev_b32_e32 v6, 1, v65
	;; [unrolled: 1-line block ×5, first 2 shown]
	v_and_b32_e32 v59, 3, v74
	s_mov_b32 s8, 0x37e14327
	s_mov_b32 s24, 0x36b3c0b5
	;; [unrolled: 1-line block ×20, first 2 shown]
	s_waitcnt vmcnt(0) lgkmcnt(6)
	v_mul_f64 v[85:86], v[26:27], v[12:13]
	v_mul_f64 v[87:88], v[28:29], v[12:13]
	v_mul_f64 v[57:58], v[14:15], v[12:13]
	v_mul_f64 v[105:106], v[16:17], v[12:13]
	s_waitcnt lgkmcnt(5)
	v_mul_f64 v[93:94], v[30:31], v[12:13]
	v_mul_f64 v[107:108], v[18:19], v[12:13]
	v_mul_f64 v[95:96], v[32:33], v[12:13]
	v_mul_f64 v[109:110], v[20:21], v[12:13]
	s_waitcnt lgkmcnt(4)
	;; [unrolled: 5-line block ×3, first 2 shown]
	v_mul_f64 v[101:102], v[72:73], v[12:13]
	v_mul_f64 v[12:13], v[70:71], v[12:13]
	v_fma_f64 v[14:15], v[14:15], v[10:11], -v[85:86]
	v_fma_f64 v[16:17], v[16:17], v[10:11], -v[87:88]
	v_fma_f64 v[26:27], v[26:27], v[10:11], v[57:58]
	v_fma_f64 v[28:29], v[28:29], v[10:11], v[105:106]
	v_fma_f64 v[18:19], v[18:19], v[10:11], -v[93:94]
	v_fma_f64 v[30:31], v[30:31], v[10:11], v[107:108]
	v_fma_f64 v[20:21], v[20:21], v[10:11], -v[95:96]
	;; [unrolled: 2-line block ×5, first 2 shown]
	v_fma_f64 v[10:11], v[72:73], v[10:11], v[12:13]
	ds_read_b64 v[64:65], v0
	ds_read_b64 v[85:86], v40
	;; [unrolled: 1-line block ×4, first 2 shown]
	v_and_or_b32 v72, 0x3fc, v8, v55
	v_and_or_b32 v73, 0x2fc, v3, v55
	v_and_or_b32 v95, 0x7c, v2, v55
	v_and_or_b32 v96, 0xfc, v4, v55
	v_lshlrev_b32_e32 v97, 4, v59
	v_lshl_add_u32 v100, v72, 3, 0
	v_lshl_add_u32 v101, v73, 3, 0
	v_add_f64 v[12:13], v[34:35], -v[14:15]
	v_add_f64 v[14:15], v[68:69], -v[16:17]
	s_waitcnt lgkmcnt(5)
	v_add_f64 v[26:27], v[91:92], -v[26:27]
	v_add_f64 v[28:29], v[89:90], -v[28:29]
	;; [unrolled: 1-line block ×3, first 2 shown]
	s_waitcnt lgkmcnt(4)
	v_add_f64 v[30:31], v[103:104], -v[30:31]
	v_add_f64 v[18:19], v[47:48], -v[20:21]
	v_lshl_add_u32 v95, v95, 3, 0
	v_add_f64 v[20:21], v[49:50], -v[22:23]
	s_waitcnt lgkmcnt(3)
	v_add_f64 v[32:33], v[64:65], -v[32:33]
	s_waitcnt lgkmcnt(2)
	v_add_f64 v[43:44], v[85:86], -v[43:44]
	v_add_f64 v[22:23], v[51:52], -v[24:25]
	s_waitcnt lgkmcnt(1)
	v_add_f64 v[45:46], v[87:88], -v[45:46]
	;; [unrolled: 3-line block ×3, first 2 shown]
	v_and_or_b32 v70, 0x1fc, v5, v55
	v_and_or_b32 v71, 0x1fc, v7, v55
	v_and_or_b32 v55, 0x3fc, v6, v55
	v_lshl_add_u32 v96, v96, 3, 0
	v_lshl_add_u32 v98, v70, 3, 0
	;; [unrolled: 1-line block ×3, first 2 shown]
	v_fma_f64 v[10:11], v[34:35], 2.0, -v[12:13]
	v_fma_f64 v[34:35], v[68:69], 2.0, -v[14:15]
	;; [unrolled: 1-line block ×7, first 2 shown]
	v_lshl_add_u32 v55, v55, 3, 0
	v_fma_f64 v[49:50], v[49:50], 2.0, -v[20:21]
	v_fma_f64 v[64:65], v[64:65], 2.0, -v[32:33]
	;; [unrolled: 1-line block ×7, first 2 shown]
	s_barrier
	buffer_gl0_inv
	ds_write2_b64 v95, v[10:11], v[12:13] offset1:2
	ds_write2_b64 v96, v[34:35], v[14:15] offset1:2
	ds_write2_b64 v98, v[66:67], v[16:17] offset1:2
	ds_write2_b64 v99, v[47:48], v[18:19] offset1:2
	ds_write2_b64 v100, v[49:50], v[20:21] offset1:2
	ds_write2_b64 v101, v[51:52], v[22:23] offset1:2
	ds_write2_b64 v55, v[53:54], v[24:25] offset1:2
	s_waitcnt lgkmcnt(0)
	s_barrier
	buffer_gl0_inv
	ds_read_b64 v[34:35], v36
	ds_read_b64 v[47:48], v0
	;; [unrolled: 1-line block ×7, first 2 shown]
	ds_read_b64 v[93:94], v36 offset:5824
	ds_read2_b64 v[10:13], v37 offset0:136 offset1:192
	ds_read2_b64 v[14:17], v9 offset0:120 offset1:176
	;; [unrolled: 1-line block ×3, first 2 shown]
	s_waitcnt lgkmcnt(0)
	s_barrier
	buffer_gl0_inv
	ds_write2_b64 v95, v[68:69], v[26:27] offset1:2
	ds_write2_b64 v96, v[70:71], v[28:29] offset1:2
	;; [unrolled: 1-line block ×7, first 2 shown]
	s_waitcnt lgkmcnt(0)
	s_barrier
	buffer_gl0_inv
	global_load_dwordx4 v[22:25], v97, s[12:13] offset:32
	ds_read2_b64 v[26:29], v37 offset0:136 offset1:192
	ds_read2_b64 v[30:33], v9 offset0:120 offset1:176
	;; [unrolled: 1-line block ×3, first 2 shown]
	ds_read_b64 v[57:58], v36 offset:5824
	ds_read_b64 v[64:65], v39
	ds_read_b64 v[68:69], v36
	v_and_or_b32 v55, 0x78, v2, v59
	v_lshl_add_u32 v55, v55, 3, 0
	s_waitcnt vmcnt(0) lgkmcnt(5)
	v_mul_f64 v[70:71], v[26:27], v[24:25]
	v_mul_f64 v[99:100], v[10:11], v[24:25]
	v_mul_f64 v[72:73], v[28:29], v[24:25]
	v_mul_f64 v[101:102], v[12:13], v[24:25]
	s_waitcnt lgkmcnt(4)
	v_mul_f64 v[85:86], v[30:31], v[24:25]
	v_mul_f64 v[103:104], v[14:15], v[24:25]
	v_mul_f64 v[87:88], v[32:33], v[24:25]
	v_mul_f64 v[105:106], v[16:17], v[24:25]
	s_waitcnt lgkmcnt(3)
	;; [unrolled: 5-line block ×3, first 2 shown]
	v_mul_f64 v[97:98], v[57:58], v[24:25]
	v_mul_f64 v[24:25], v[93:94], v[24:25]
	v_fma_f64 v[70:71], v[10:11], v[22:23], -v[70:71]
	v_fma_f64 v[26:27], v[26:27], v[22:23], v[99:100]
	v_fma_f64 v[11:12], v[12:13], v[22:23], -v[72:73]
	v_fma_f64 v[28:29], v[28:29], v[22:23], v[101:102]
	;; [unrolled: 2-line block ×4, first 2 shown]
	v_fma_f64 v[17:18], v[18:19], v[22:23], -v[89:90]
	ds_read_b64 v[85:86], v38
	v_fma_f64 v[43:44], v[43:44], v[22:23], v[107:108]
	v_fma_f64 v[19:20], v[20:21], v[22:23], -v[95:96]
	v_fma_f64 v[45:46], v[45:46], v[22:23], v[109:110]
	v_fma_f64 v[72:73], v[93:94], v[22:23], -v[97:98]
	v_fma_f64 v[21:22], v[57:58], v[22:23], v[24:25]
	ds_read_b64 v[87:88], v0
	ds_read_b64 v[89:90], v40
	;; [unrolled: 1-line block ×4, first 2 shown]
	v_and_b32_e32 v10, 7, v74
	v_and_or_b32 v97, 0xf8, v4, v59
	v_and_or_b32 v98, 0x3f8, v8, v59
	v_and_or_b32 v99, 0x2f8, v3, v59
	s_waitcnt lgkmcnt(0)
	v_lshlrev_b32_e32 v100, 4, v10
	v_add_f64 v[23:24], v[34:35], -v[70:71]
	v_add_f64 v[25:26], v[68:69], -v[26:27]
	;; [unrolled: 1-line block ×5, first 2 shown]
	v_lshl_add_u32 v101, v97, 3, 0
	v_add_f64 v[15:16], v[47:48], -v[15:16]
	v_add_f64 v[29:30], v[85:86], -v[30:31]
	;; [unrolled: 1-line block ×3, first 2 shown]
	v_lshl_add_u32 v103, v98, 3, 0
	v_add_f64 v[31:32], v[87:88], -v[32:33]
	v_add_f64 v[43:44], v[89:90], -v[43:44]
	;; [unrolled: 1-line block ×6, first 2 shown]
	v_and_or_b32 v72, 0x1f8, v5, v59
	v_and_or_b32 v73, 0x1f8, v7, v59
	;; [unrolled: 1-line block ×3, first 2 shown]
	v_lshl_add_u32 v99, v99, 3, 0
	s_barrier
	buffer_gl0_inv
	v_fma_f64 v[21:22], v[34:35], 2.0, -v[23:24]
	v_fma_f64 v[68:69], v[68:69], 2.0, -v[25:26]
	;; [unrolled: 1-line block ×5, first 2 shown]
	v_lshl_add_u32 v35, v72, 3, 0
	v_lshl_add_u32 v102, v73, 3, 0
	v_fma_f64 v[72:73], v[85:86], 2.0, -v[29:30]
	v_fma_f64 v[47:48], v[47:48], 2.0, -v[15:16]
	;; [unrolled: 1-line block ×9, first 2 shown]
	v_lshl_add_u32 v59, v59, 3, 0
	ds_write2_b64 v55, v[21:22], v[23:24] offset1:4
	ds_write2_b64 v101, v[33:34], v[11:12] offset1:4
	;; [unrolled: 1-line block ×7, first 2 shown]
	s_waitcnt lgkmcnt(0)
	s_barrier
	buffer_gl0_inv
	ds_read_b64 v[49:50], v36
	ds_read_b64 v[51:52], v0
	;; [unrolled: 1-line block ×7, first 2 shown]
	ds_read_b64 v[97:98], v36 offset:5824
	ds_read2_b64 v[11:14], v37 offset0:136 offset1:192
	ds_read2_b64 v[15:18], v9 offset0:120 offset1:176
	;; [unrolled: 1-line block ×3, first 2 shown]
	s_waitcnt lgkmcnt(0)
	s_barrier
	buffer_gl0_inv
	ds_write2_b64 v55, v[68:69], v[25:26] offset1:4
	ds_write2_b64 v101, v[64:65], v[27:28] offset1:4
	ds_write2_b64 v35, v[72:73], v[29:30] offset1:4
	ds_write2_b64 v102, v[85:86], v[31:32] offset1:4
	ds_write2_b64 v103, v[87:88], v[43:44] offset1:4
	ds_write2_b64 v99, v[89:90], v[45:46] offset1:4
	ds_write2_b64 v59, v[91:92], v[70:71] offset1:4
	s_waitcnt lgkmcnt(0)
	s_barrier
	buffer_gl0_inv
	global_load_dwordx4 v[23:26], v100, s[12:13] offset:96
	ds_read2_b64 v[27:30], v37 offset0:136 offset1:192
	ds_read2_b64 v[31:34], v9 offset0:120 offset1:176
	;; [unrolled: 1-line block ×3, first 2 shown]
	ds_read_b64 v[64:65], v36 offset:5824
	ds_read_b64 v[72:73], v39
	ds_read_b64 v[85:86], v36
	;; [unrolled: 1-line block ×3, first 2 shown]
	v_and_or_b32 v9, 0xf0, v4, v10
	v_and_or_b32 v35, 0x1f0, v5, v10
	;; [unrolled: 1-line block ×6, first 2 shown]
	v_and_b32_e32 v44, 15, v74
	v_and_b32_e32 v43, 15, v56
	v_lshl_add_u32 v55, v55, 3, 0
	v_lshl_add_u32 v59, v59, 3, 0
	s_waitcnt vmcnt(0) lgkmcnt(6)
	v_mul_f64 v[68:69], v[27:28], v[25:26]
	v_mul_f64 v[105:106], v[11:12], v[25:26]
	;; [unrolled: 1-line block ×3, first 2 shown]
	s_waitcnt lgkmcnt(5)
	v_mul_f64 v[89:90], v[33:34], v[25:26]
	s_waitcnt lgkmcnt(3)
	v_mul_f64 v[101:102], v[64:65], v[25:26]
	v_mul_f64 v[107:108], v[13:14], v[25:26]
	;; [unrolled: 1-line block ×10, first 2 shown]
	v_fma_f64 v[11:12], v[11:12], v[23:24], -v[68:69]
	v_fma_f64 v[27:28], v[27:28], v[23:24], v[105:106]
	v_fma_f64 v[13:14], v[13:14], v[23:24], -v[70:71]
	v_fma_f64 v[17:18], v[17:18], v[23:24], -v[89:90]
	v_fma_f64 v[68:69], v[97:98], v[23:24], -v[101:102]
	v_fma_f64 v[29:30], v[29:30], v[23:24], v[107:108]
	v_fma_f64 v[15:16], v[15:16], v[23:24], -v[87:88]
	v_fma_f64 v[19:20], v[19:20], v[23:24], -v[91:92]
	v_fma_f64 v[31:32], v[31:32], v[23:24], v[109:110]
	v_fma_f64 v[21:22], v[21:22], v[23:24], -v[99:100]
	v_fma_f64 v[33:34], v[33:34], v[23:24], v[111:112]
	v_fma_f64 v[45:46], v[45:46], v[23:24], v[113:114]
	;; [unrolled: 1-line block ×3, first 2 shown]
	ds_read_b64 v[4:5], v0
	ds_read_b64 v[7:8], v42
	;; [unrolled: 1-line block ×4, first 2 shown]
	v_fma_f64 v[23:24], v[64:65], v[23:24], v[25:26]
	v_lshl_add_u32 v102, v35, 3, 0
	v_and_or_b32 v97, 0x2f0, v3, v10
	v_lshl_add_u32 v100, v2, 3, 0
	v_lshl_add_u32 v101, v9, 3, 0
	v_mul_u32_u24_e32 v99, 6, v44
	v_mul_u32_u24_e32 v98, 6, v43
	s_waitcnt lgkmcnt(0)
	v_add_f64 v[11:12], v[49:50], -v[11:12]
	v_add_f64 v[64:65], v[85:86], -v[27:28]
	;; [unrolled: 1-line block ×13, first 2 shown]
	v_lshlrev_b32_e32 v105, 4, v99
	v_add_f64 v[91:92], v[7:8], -v[23:24]
	v_lshlrev_b32_e32 v113, 4, v98
	s_barrier
	buffer_gl0_inv
	v_fma_f64 v[2:3], v[49:50], 2.0, -v[11:12]
	v_fma_f64 v[49:50], v[85:86], 2.0, -v[64:65]
	;; [unrolled: 1-line block ×13, first 2 shown]
	v_lshl_add_u32 v93, v97, 3, 0
	v_fma_f64 v[72:73], v[7:8], 2.0, -v[91:92]
	v_lshl_add_u32 v94, v6, 3, 0
	ds_write2_b64 v100, v[2:3], v[11:12] offset1:8
	ds_write2_b64 v101, v[9:10], v[13:14] offset1:8
	;; [unrolled: 1-line block ×7, first 2 shown]
	s_waitcnt lgkmcnt(0)
	s_barrier
	buffer_gl0_inv
	ds_read2_b64 v[0:3], v36 offset1:168
	ds_read_b64 v[22:23], v42
	ds_read2_b64 v[4:7], v37 offset0:192 offset1:248
	ds_read2_b64 v[28:31], v41 offset0:48 offset1:104
	;; [unrolled: 1-line block ×3, first 2 shown]
	ds_read_b64 v[24:25], v40
	ds_read_b64 v[26:27], v38
	;; [unrolled: 1-line block ×3, first 2 shown]
	ds_read2_b64 v[8:11], v37 offset0:24 offset1:136
	s_waitcnt lgkmcnt(0)
	s_barrier
	buffer_gl0_inv
	ds_write2_b64 v100, v[49:50], v[64:65] offset1:8
	ds_write2_b64 v101, v[51:52], v[68:69] offset1:8
	;; [unrolled: 1-line block ×7, first 2 shown]
	s_waitcnt lgkmcnt(0)
	s_barrier
	buffer_gl0_inv
	s_clause 0xb
	global_load_dwordx4 v[49:52], v105, s[12:13] offset:288
	global_load_dwordx4 v[64:67], v113, s[12:13] offset:288
	;; [unrolled: 1-line block ×12, first 2 shown]
	ds_read2_b64 v[113:116], v41 offset0:48 offset1:104
	v_lshrrev_b32_e32 v59, 4, v56
	v_lshrrev_b32_e32 v55, 4, v74
	v_mul_lo_u32 v59, 0x70, v59
	v_mul_u32_u24_e32 v55, 0x70, v55
	v_or_b32_e32 v44, v55, v44
	v_or_b32_e32 v43, v59, v43
	v_lshl_add_u32 v55, v44, 3, 0
	v_lshl_add_u32 v59, v43, 3, 0
	s_waitcnt vmcnt(11) lgkmcnt(0)
	v_mul_f64 v[32:33], v[113:114], v[51:52]
	v_mul_f64 v[34:35], v[28:29], v[51:52]
	s_waitcnt vmcnt(10)
	v_mul_f64 v[51:52], v[115:116], v[66:67]
	v_mul_f64 v[53:54], v[30:31], v[66:67]
	s_waitcnt vmcnt(8)
	v_mul_f64 v[66:67], v[47:48], v[87:88]
	v_fma_f64 v[32:33], v[28:29], v[49:50], -v[32:33]
	v_fma_f64 v[34:35], v[113:114], v[49:50], v[34:35]
	v_fma_f64 v[28:29], v[30:31], v[64:65], -v[51:52]
	ds_read2_b64 v[49:52], v41 offset0:160 offset1:216
	v_fma_f64 v[30:31], v[115:116], v[64:65], v[53:54]
	v_mul_f64 v[53:54], v[45:46], v[70:71]
	s_waitcnt lgkmcnt(0)
	v_mul_f64 v[57:58], v[49:50], v[70:71]
	v_mul_f64 v[64:65], v[51:52], v[87:88]
	ds_read_b64 v[70:71], v38
	v_fma_f64 v[66:67], v[51:52], v[85:86], v[66:67]
	v_fma_f64 v[53:54], v[49:50], v[68:69], v[53:54]
	v_fma_f64 v[57:58], v[45:46], v[68:69], -v[57:58]
	v_fma_f64 v[64:65], v[47:48], v[85:86], -v[64:65]
	s_waitcnt vmcnt(7) lgkmcnt(0)
	v_mul_f64 v[45:46], v[70:71], v[91:92]
	v_mul_f64 v[47:48], v[26:27], v[91:92]
	ds_read_b64 v[68:69], v40
	ds_read_b64 v[72:73], v42
	s_waitcnt vmcnt(6)
	v_mul_f64 v[91:92], v[24:25], v[95:96]
	ds_read_b64 v[87:88], v39
	s_waitcnt lgkmcnt(2)
	v_mul_f64 v[85:86], v[68:69], v[95:96]
	v_fma_f64 v[113:114], v[26:27], v[89:90], -v[45:46]
	v_fma_f64 v[70:71], v[70:71], v[89:90], v[47:48]
	ds_read2_b64 v[45:48], v37 offset0:24 offset1:136
	ds_read2_b64 v[49:52], v37 offset0:192 offset1:248
	s_waitcnt vmcnt(5)
	v_mul_f64 v[89:90], v[22:23], v[99:100]
	v_fma_f64 v[68:69], v[68:69], v[93:94], v[91:92]
	s_waitcnt lgkmcnt(3)
	v_mul_f64 v[95:96], v[72:73], v[99:100]
	s_waitcnt vmcnt(4) lgkmcnt(1)
	v_mul_f64 v[91:92], v[45:46], v[103:104]
	v_fma_f64 v[85:86], v[24:25], v[93:94], -v[85:86]
	ds_read2_b64 v[24:27], v36 offset1:168
	v_mul_f64 v[93:94], v[8:9], v[103:104]
	v_fma_f64 v[72:73], v[72:73], v[97:98], v[89:90]
	s_waitcnt vmcnt(3) lgkmcnt(1)
	v_mul_f64 v[89:90], v[49:50], v[107:108]
	v_fma_f64 v[22:23], v[22:23], v[97:98], -v[95:96]
	v_mul_f64 v[95:96], v[4:5], v[107:108]
	v_add_f64 v[43:44], v[68:69], -v[34:35]
	v_add_f64 v[34:35], v[68:69], v[34:35]
	s_waitcnt vmcnt(0) lgkmcnt(0)
	s_barrier
	buffer_gl0_inv
	v_fma_f64 v[8:9], v[8:9], v[101:102], -v[91:92]
	v_mul_f64 v[91:92], v[2:3], v[111:112]
	v_mul_f64 v[97:98], v[26:27], v[111:112]
	v_fma_f64 v[45:46], v[45:46], v[101:102], v[93:94]
	v_fma_f64 v[4:5], v[4:5], v[105:106], -v[89:90]
	v_mul_f64 v[89:90], v[47:48], v[18:19]
	v_mul_f64 v[18:19], v[10:11], v[18:19]
	v_fma_f64 v[49:50], v[49:50], v[105:106], v[95:96]
	v_fma_f64 v[26:27], v[26:27], v[109:110], v[91:92]
	v_mul_f64 v[91:92], v[51:52], v[14:15]
	v_mul_f64 v[14:15], v[6:7], v[14:15]
	v_fma_f64 v[2:3], v[2:3], v[109:110], -v[97:98]
	v_fma_f64 v[10:11], v[10:11], v[16:17], -v[89:90]
	v_fma_f64 v[16:17], v[47:48], v[16:17], v[18:19]
	v_add_f64 v[18:19], v[85:86], v[32:33]
	v_add_f64 v[89:90], v[70:71], -v[53:54]
	v_add_f64 v[53:54], v[70:71], v[53:54]
	v_add_f64 v[70:71], v[8:9], v[28:29]
	v_add_f64 v[47:48], v[49:50], -v[72:73]
	v_add_f64 v[32:33], v[85:86], -v[32:33]
	v_add_f64 v[49:50], v[72:73], v[49:50]
	v_add_f64 v[8:9], v[8:9], -v[28:29]
	v_add_f64 v[28:29], v[45:46], v[30:31]
	v_add_f64 v[30:31], v[45:46], -v[30:31]
	v_fma_f64 v[6:7], v[6:7], v[12:13], -v[91:92]
	v_fma_f64 v[12:13], v[51:52], v[12:13], v[14:15]
	v_add_f64 v[14:15], v[113:114], v[57:58]
	v_add_f64 v[68:69], v[2:3], v[64:65]
	;; [unrolled: 1-line block ×3, first 2 shown]
	v_add_f64 v[4:5], v[4:5], -v[22:23]
	v_add_f64 v[22:23], v[26:27], v[66:67]
	v_add_f64 v[26:27], v[26:27], -v[66:67]
	v_add_f64 v[72:73], v[34:35], v[53:54]
	v_add_f64 v[57:58], v[113:114], -v[57:58]
	v_add_f64 v[2:3], v[2:3], -v[64:65]
	v_add_f64 v[64:65], v[47:48], v[43:44]
	v_add_f64 v[85:86], v[47:48], -v[43:44]
	v_add_f64 v[93:94], v[34:35], -v[53:54]
	v_add_f64 v[53:54], v[53:54], -v[49:50]
	v_add_f64 v[34:35], v[49:50], -v[34:35]
	v_add_f64 v[43:44], v[43:44], -v[89:90]
	v_add_f64 v[47:48], v[89:90], -v[47:48]
	v_add_f64 v[45:46], v[10:11], v[6:7]
	v_add_f64 v[6:7], v[6:7], -v[10:11]
	v_add_f64 v[10:11], v[16:17], v[12:13]
	v_add_f64 v[12:13], v[12:13], -v[16:17]
	v_add_f64 v[16:17], v[18:19], v[14:15]
	v_add_f64 v[91:92], v[70:71], v[68:69]
	v_add_f64 v[66:67], v[14:15], -v[51:52]
	v_add_f64 v[14:15], v[18:19], -v[14:15]
	;; [unrolled: 1-line block ×3, first 2 shown]
	v_add_f64 v[95:96], v[4:5], v[32:33]
	v_add_f64 v[99:100], v[28:29], v[22:23]
	v_add_f64 v[101:102], v[70:71], -v[68:69]
	v_add_f64 v[49:50], v[49:50], v[72:73]
	v_add_f64 v[97:98], v[4:5], -v[32:33]
	v_add_f64 v[4:5], v[57:58], -v[4:5]
	;; [unrolled: 1-line block ×3, first 2 shown]
	v_add_f64 v[64:65], v[64:65], v[89:90]
	v_mul_f64 v[53:54], v[53:54], s[8:9]
	v_mul_f64 v[85:86], v[85:86], s[26:27]
	v_add_f64 v[68:69], v[68:69], -v[45:46]
	v_add_f64 v[103:104], v[6:7], v[8:9]
	v_add_f64 v[70:71], v[45:46], -v[70:71]
	v_add_f64 v[105:106], v[12:13], v[30:31]
	v_add_f64 v[16:17], v[51:52], v[16:17]
	v_add_f64 v[72:73], v[12:13], -v[30:31]
	v_add_f64 v[45:46], v[45:46], v[91:92]
	v_add_f64 v[30:31], v[30:31], -v[26:27]
	v_add_f64 v[51:52], v[28:29], -v[22:23]
	;; [unrolled: 1-line block ×6, first 2 shown]
	v_mul_f64 v[66:67], v[66:67], s[8:9]
	v_mul_f64 v[89:90], v[18:19], s[24:25]
	v_add_f64 v[57:58], v[95:96], v[57:58]
	v_add_f64 v[10:11], v[10:11], v[99:100]
	v_mul_f64 v[95:96], v[34:35], s[24:25]
	v_add_f64 v[6:7], v[2:3], -v[6:7]
	v_add_f64 v[12:13], v[26:27], -v[12:13]
	v_mul_f64 v[97:98], v[97:98], s[26:27]
	v_mul_f64 v[99:100], v[32:33], s[16:17]
	;; [unrolled: 1-line block ×3, first 2 shown]
	v_add_f64 v[2:3], v[103:104], v[2:3]
	v_mul_f64 v[103:104], v[43:44], s[16:17]
	v_add_f64 v[26:27], v[105:106], v[26:27]
	v_add_f64 v[0:1], v[0:1], v[16:17]
	v_mul_f64 v[72:73], v[72:73], s[26:27]
	v_add_f64 v[20:21], v[20:21], v[45:46]
	v_mul_f64 v[107:108], v[30:31], s[16:17]
	v_mul_f64 v[105:106], v[70:71], s[24:25]
	v_add_f64 v[24:25], v[24:25], v[49:50]
	v_mul_f64 v[22:23], v[22:23], s[8:9]
	v_mul_f64 v[91:92], v[91:92], s[26:27]
	;; [unrolled: 1-line block ×3, first 2 shown]
	v_fma_f64 v[18:19], v[18:19], s[24:25], v[66:67]
	v_fma_f64 v[89:90], v[14:15], s[6:7], -v[89:90]
	v_fma_f64 v[14:15], v[14:15], s[14:15], -v[66:67]
	v_mul_f64 v[66:67], v[28:29], s[24:25]
	v_fma_f64 v[34:35], v[34:35], s[24:25], v[53:54]
	v_fma_f64 v[95:96], v[93:94], s[6:7], -v[95:96]
	v_fma_f64 v[53:54], v[93:94], s[14:15], -v[53:54]
	v_add_f64 v[87:88], v[87:88], v[10:11]
	v_fma_f64 v[93:94], v[47:48], s[20:21], v[85:86]
	v_fma_f64 v[43:44], v[43:44], s[16:17], -v[85:86]
	v_fma_f64 v[70:71], v[70:71], s[24:25], v[68:69]
	v_fma_f64 v[47:48], v[47:48], s[22:23], -v[103:104]
	v_fma_f64 v[68:69], v[101:102], s[14:15], -v[68:69]
	v_fma_f64 v[16:17], v[16:17], s[18:19], v[0:1]
	v_fma_f64 v[103:104], v[12:13], s[20:21], v[72:73]
	v_fma_f64 v[30:31], v[30:31], s[16:17], -v[72:73]
	v_fma_f64 v[45:46], v[45:46], s[18:19], v[20:21]
	v_fma_f64 v[12:13], v[12:13], s[22:23], -v[107:108]
	v_fma_f64 v[85:86], v[101:102], s[6:7], -v[105:106]
	;; [unrolled: 1-line block ×3, first 2 shown]
	v_fma_f64 v[72:73], v[4:5], s[20:21], v[97:98]
	v_fma_f64 v[4:5], v[4:5], s[22:23], -v[99:100]
	v_fma_f64 v[8:9], v[8:9], s[16:17], -v[91:92]
	v_fma_f64 v[91:92], v[6:7], s[20:21], v[91:92]
	v_fma_f64 v[49:50], v[49:50], s[18:19], v[24:25]
	v_fma_f64 v[6:7], v[6:7], s[22:23], -v[109:110]
	v_fma_f64 v[28:29], v[28:29], s[24:25], v[22:23]
	v_fma_f64 v[66:67], v[51:52], s[6:7], -v[66:67]
	v_fma_f64 v[22:23], v[51:52], s[14:15], -v[22:23]
	v_fma_f64 v[10:11], v[10:11], s[18:19], v[87:88]
	v_fma_f64 v[51:52], v[64:65], s[4:5], v[93:94]
	;; [unrolled: 1-line block ×4, first 2 shown]
	v_add_f64 v[18:19], v[18:19], v[16:17]
	v_add_f64 v[89:90], v[89:90], v[16:17]
	;; [unrolled: 1-line block ×3, first 2 shown]
	v_fma_f64 v[16:17], v[26:27], s[4:5], v[103:104]
	v_fma_f64 v[30:31], v[26:27], s[4:5], v[30:31]
	;; [unrolled: 1-line block ×3, first 2 shown]
	v_add_f64 v[26:27], v[70:71], v[45:46]
	v_add_f64 v[64:65], v[85:86], v[45:46]
	;; [unrolled: 1-line block ×3, first 2 shown]
	v_fma_f64 v[68:69], v[57:58], s[4:5], v[72:73]
	v_fma_f64 v[32:33], v[57:58], s[4:5], v[32:33]
	;; [unrolled: 1-line block ×4, first 2 shown]
	v_add_f64 v[70:71], v[95:96], v[49:50]
	v_fma_f64 v[8:9], v[2:3], s[4:5], v[8:9]
	v_add_f64 v[53:54], v[53:54], v[49:50]
	v_fma_f64 v[2:3], v[2:3], s[4:5], v[6:7]
	v_add_f64 v[6:7], v[34:35], v[49:50]
	v_add_f64 v[28:29], v[28:29], v[10:11]
	;; [unrolled: 1-line block ×5, first 2 shown]
	v_add_f64 v[49:50], v[89:90], -v[43:44]
	v_add_f64 v[66:67], v[47:48], v[14:15]
	v_add_f64 v[43:44], v[43:44], v[89:90]
	v_add_f64 v[14:15], v[14:15], -v[47:48]
	v_add_f64 v[18:19], v[18:19], -v[51:52]
	v_add_f64 v[51:52], v[16:17], v[26:27]
	v_add_f64 v[47:48], v[64:65], -v[30:31]
	v_add_f64 v[30:31], v[30:31], v[64:65]
	v_add_f64 v[64:65], v[12:13], v[45:46]
	v_add_f64 v[12:13], v[45:46], -v[12:13]
	v_add_f64 v[16:17], v[26:27], -v[16:17]
	ds_write2_b64 v55, v[0:1], v[22:23] offset1:16
	ds_write2_b64 v55, v[66:67], v[49:50] offset0:32 offset1:48
	ds_write2_b64 v55, v[43:44], v[14:15] offset0:64 offset1:80
	ds_write_b64 v55, v[18:19] offset:768
	ds_write2_b64 v59, v[20:21], v[51:52] offset1:16
	ds_write2_b64 v59, v[64:65], v[47:48] offset0:32 offset1:48
	ds_write2_b64 v59, v[30:31], v[12:13] offset0:64 offset1:80
	ds_write_b64 v59, v[16:17] offset:768
	v_add_f64 v[26:27], v[32:33], v[70:71]
	v_add_f64 v[32:33], v[70:71], -v[32:33]
	v_add_f64 v[45:46], v[53:54], -v[4:5]
	v_add_f64 v[53:54], v[4:5], v[53:54]
	v_add_f64 v[72:73], v[6:7], -v[68:69]
	v_add_f64 v[85:86], v[68:69], v[6:7]
	v_add_f64 v[89:90], v[8:9], v[34:35]
	v_add_f64 v[34:35], v[34:35], -v[8:9]
	v_add_f64 v[91:92], v[10:11], -v[2:3]
	v_add_f64 v[93:94], v[2:3], v[10:11]
	s_waitcnt lgkmcnt(0)
	s_barrier
	buffer_gl0_inv
	ds_read2_b64 v[0:3], v36 offset1:168
	ds_read_b64 v[66:67], v42
	ds_read2_b64 v[4:7], v37 offset0:192 offset1:248
	ds_read2_b64 v[12:15], v41 offset0:48 offset1:104
	ds_read2_b64 v[16:19], v41 offset0:160 offset1:216
	ds_read_b64 v[68:69], v40
	ds_read_b64 v[70:71], v38
	;; [unrolled: 1-line block ×3, first 2 shown]
	ds_read2_b64 v[8:11], v37 offset0:24 offset1:136
	v_add_f64 v[95:96], v[28:29], -v[57:58]
	v_add_f64 v[28:29], v[57:58], v[28:29]
	s_waitcnt lgkmcnt(0)
	s_barrier
	buffer_gl0_inv
	ds_write2_b64 v55, v[24:25], v[72:73] offset1:16
	ds_write2_b64 v55, v[45:46], v[26:27] offset0:32 offset1:48
	ds_write2_b64 v55, v[32:33], v[53:54] offset0:64 offset1:80
	ds_write_b64 v55, v[85:86] offset:768
	ds_write2_b64 v59, v[87:88], v[95:96] offset1:16
	ds_write2_b64 v59, v[91:92], v[89:90] offset0:32 offset1:48
	ds_write2_b64 v59, v[34:35], v[93:94] offset0:64 offset1:80
	ds_write_b64 v59, v[28:29] offset:768
	s_waitcnt lgkmcnt(0)
	s_barrier
	buffer_gl0_inv
	s_and_saveexec_b32 s28, vcc_lo
	s_cbranch_execz .LBB0_15
; %bb.14:
	v_mul_u32_u24_e32 v22, 6, v74
	v_mul_i32_i24_e32 v20, 6, v56
	v_mov_b32_e32 v21, 0
	v_mul_lo_u32 v95, s0, v63
	v_lshlrev_b64 v[93:94], 4, v[60:61]
	v_lshlrev_b32_e32 v22, 4, v22
	v_add_nc_u32_e32 v103, 56, v74
	v_lshlrev_b64 v[20:21], 4, v[20:21]
	v_sub_nc_u32_e32 v121, 0, v80
	global_load_dwordx4 v[56:59], v22, s[12:13] offset:1840
	v_lshrrev_b32_e32 v80, 4, v103
	v_add_co_u32 v72, vcc_lo, s12, v20
	v_add_co_ci_u32_e32 v73, vcc_lo, s13, v21, vcc_lo
	v_mul_hi_u32 v111, 0x24924925, v80
	s_clause 0xa
	global_load_dwordx4 v[52:55], v[72:73], off offset:1840
	global_load_dwordx4 v[48:51], v22, s[12:13] offset:1760
	global_load_dwordx4 v[44:47], v22, s[12:13] offset:1776
	;; [unrolled: 1-line block ×5, first 2 shown]
	global_load_dwordx4 v[28:31], v[72:73], off offset:1824
	global_load_dwordx4 v[24:27], v[72:73], off offset:1760
	;; [unrolled: 1-line block ×5, first 2 shown]
	v_sub_nc_u32_e32 v72, 0, v81
	v_sub_nc_u32_e32 v81, 0, v82
	;; [unrolled: 1-line block ×4, first 2 shown]
	v_mul_lo_u32 v84, s1, v62
	v_add_nc_u32_e32 v119, v77, v72
	v_mad_u64_u32 v[72:73], null, s0, v62, 0
	v_lshrrev_b32_e32 v77, 4, v74
	v_add_nc_u32_e32 v76, v76, v81
	v_add_nc_u32_e32 v101, 0x1000, v119
	;; [unrolled: 1-line block ×4, first 2 shown]
	v_mul_hi_u32 v77, 0x24924925, v77
	v_add3_u32 v73, v73, v95, v84
	ds_read2_b64 v[60:63], v101 offset0:160 offset1:216
	v_add_nc_u32_e32 v84, 0x800, v119
	ds_read_b64 v[95:96], v76
	ds_read_b64 v[97:98], v79
	;; [unrolled: 1-line block ×3, first 2 shown]
	v_mul_lo_u32 v104, 0x70, v111
	v_lshlrev_b64 v[72:73], 4, v[72:73]
	v_mul_lo_u32 v102, 0x70, v77
	ds_read2_b64 v[76:79], v101 offset0:48 offset1:104
	ds_read2_b64 v[80:83], v84 offset0:192 offset1:248
	v_add_co_u32 v101, vcc_lo, s10, v72
	v_add_co_ci_u32_e32 v105, vcc_lo, s11, v73, vcc_lo
	v_sub_nc_u32_e32 v112, v74, v102
	v_add_co_u32 v123, vcc_lo, v101, v93
	v_add_co_ci_u32_e32 v124, vcc_lo, v105, v94, vcc_lo
	v_mad_u64_u32 v[93:94], null, s2, v112, 0
	v_add_nc_u32_e32 v113, 0x70, v112
	v_add_nc_u32_e32 v117, 0x230, v112
	v_sub_nc_u32_e32 v74, v103, v104
	v_add_nc_u32_e32 v115, 0x150, v112
	v_add_nc_u32_e32 v116, 0x1c0, v112
	v_mad_u64_u32 v[103:104], null, s2, v113, 0
	v_add_nc_u32_e32 v114, 0xe0, v112
	v_add_nc_u32_e32 v118, 0x2a0, v112
	v_mad_u64_u32 v[109:110], null, s2, v115, 0
	v_mad_u64_u32 v[105:106], null, s2, v114, 0
	s_waitcnt vmcnt(10) lgkmcnt(5)
	v_mul_f64 v[101:102], v[54:55], v[62:63]
	v_mul_f64 v[72:73], v[58:59], v[60:61]
	;; [unrolled: 1-line block ×4, first 2 shown]
	s_waitcnt vmcnt(9) lgkmcnt(4)
	v_mul_f64 v[107:108], v[50:51], v[95:96]
	v_mul_f64 v[95:96], v[48:49], v[95:96]
	v_fma_f64 v[52:53], v[18:19], v[52:53], -v[101:102]
	v_fma_f64 v[56:57], v[16:17], v[56:57], -v[72:73]
	v_fma_f64 v[58:59], v[16:17], v[58:59], v[60:61]
	s_waitcnt vmcnt(8) lgkmcnt(2)
	v_mul_f64 v[16:17], v[46:47], v[99:100]
	v_mul_f64 v[60:61], v[44:45], v[99:100]
	v_fma_f64 v[54:55], v[18:19], v[54:55], v[62:63]
	v_mov_b32_e32 v62, v94
	v_mad_u64_u32 v[18:19], null, s2, v117, 0
	v_mad_u64_u32 v[72:73], null, s2, v116, 0
	;; [unrolled: 1-line block ×3, first 2 shown]
	v_mov_b32_e32 v63, v104
	v_mad_u64_u32 v[99:100], null, s2, v118, 0
	v_mad_u64_u32 v[101:102], null, 0x310, v111, v[74:75]
	v_fma_f64 v[50:51], v[70:71], v[50:51], v[95:96]
	s_waitcnt vmcnt(2)
	v_mad_u64_u32 v[95:96], null, s3, v117, v[19:20]
	v_mov_b32_e32 v94, v62
	v_fma_f64 v[48:49], v[70:71], v[48:49], -v[107:108]
	v_mov_b32_e32 v70, v110
	v_mov_b32_e32 v71, v73
	v_fma_f64 v[44:45], v[68:69], v[44:45], -v[16:17]
	v_fma_f64 v[46:47], v[68:69], v[46:47], v[60:61]
	v_mad_u64_u32 v[68:69], null, s3, v113, v[63:64]
	v_mul_f64 v[62:63], v[42:43], v[97:98]
	v_mul_f64 v[96:97], v[40:41], v[97:98]
	v_mov_b32_e32 v74, v106
	v_mov_b32_e32 v16, v100
	v_mad_u64_u32 v[60:61], null, s2, v101, 0
	v_mad_u64_u32 v[69:70], null, s3, v115, v[70:71]
	v_add_nc_u32_e32 v102, 0x70, v101
	v_add_nc_u32_e32 v120, 0xe0, v101
	;; [unrolled: 1-line block ×3, first 2 shown]
	v_mad_u64_u32 v[73:74], null, s3, v114, v[74:75]
	v_add_nc_u32_e32 v74, 0x1c0, v101
	v_mad_u64_u32 v[70:71], null, s3, v116, v[71:72]
	v_mad_u64_u32 v[16:17], null, s3, v118, v[16:17]
	;; [unrolled: 1-line block ×5, first 2 shown]
	v_add_nc_u32_e32 v125, 0x230, v101
	v_mov_b32_e32 v104, v68
	v_mov_b32_e32 v110, v69
	v_mad_u64_u32 v[68:69], null, s2, v74, 0
	v_mov_b32_e32 v17, v61
	v_mov_b32_e32 v106, v73
	v_mov_b32_e32 v73, v70
	v_mad_u64_u32 v[70:71], null, s2, v125, 0
	v_mov_b32_e32 v100, v16
	v_mad_u64_u32 v[16:17], null, s3, v101, v[17:18]
	v_mov_b32_e32 v17, v108
	v_mov_b32_e32 v19, v95
	v_fma_f64 v[62:63], v[66:67], v[40:41], -v[62:63]
	v_mov_b32_e32 v40, v112
	v_mov_b32_e32 v41, v114
	v_fma_f64 v[66:67], v[66:67], v[42:43], v[96:97]
	v_mov_b32_e32 v42, v69
	v_lshlrev_b64 v[93:94], 4, v[93:94]
	v_mad_u64_u32 v[95:96], null, s3, v102, v[17:18]
	v_mad_u64_u32 v[96:97], null, s3, v120, v[40:41]
	v_lshlrev_b64 v[18:19], 4, v[18:19]
	v_add_nc_u32_e32 v126, 0x2a0, v101
	v_mov_b32_e32 v17, v71
	v_mad_u64_u32 v[97:98], null, s3, v122, v[41:42]
	v_mad_u64_u32 v[101:102], null, s3, v74, v[42:43]
	v_lshlrev_b64 v[41:42], 4, v[103:104]
	v_add_co_u32 v93, vcc_lo, v123, v93
	v_lshlrev_b64 v[102:103], 4, v[105:106]
	v_add_co_ci_u32_e32 v94, vcc_lo, v124, v94, vcc_lo
	v_lshlrev_b64 v[71:72], 4, v[72:73]
	v_lshlrev_b64 v[73:74], 4, v[99:100]
	v_mad_u64_u32 v[98:99], null, s3, v125, v[17:18]
	v_lshlrev_b64 v[104:105], 4, v[109:110]
	v_add_co_u32 v99, vcc_lo, v123, v41
	v_mad_u64_u32 v[115:116], null, s2, v126, 0
	v_add_co_ci_u32_e32 v100, vcc_lo, v124, v42, vcc_lo
	v_add_co_u32 v102, vcc_lo, v123, v102
	v_add_co_ci_u32_e32 v103, vcc_lo, v124, v103, vcc_lo
	v_add_co_u32 v104, vcc_lo, v123, v104
	v_add_co_ci_u32_e32 v105, vcc_lo, v124, v105, vcc_lo
	v_mov_b32_e32 v40, v116
	v_add_co_u32 v109, vcc_lo, v123, v71
	v_add_co_ci_u32_e32 v110, vcc_lo, v124, v72, vcc_lo
	v_add_co_u32 v117, vcc_lo, v123, v18
	v_mov_b32_e32 v108, v95
	v_mov_b32_e32 v112, v96
	s_waitcnt lgkmcnt(1)
	v_mul_f64 v[95:96], v[38:39], v[76:77]
	v_mul_f64 v[76:77], v[36:37], v[76:77]
	v_mov_b32_e32 v61, v16
	v_add_co_ci_u32_e32 v118, vcc_lo, v124, v19, vcc_lo
	ds_read2_b64 v[16:19], v119 offset1:168
	v_mad_u64_u32 v[119:120], null, s3, v126, v[40:41]
	ds_read2_b64 v[40:43], v84 offset0:24 offset1:136
	v_mov_b32_e32 v114, v97
	v_mov_b32_e32 v71, v98
	s_waitcnt lgkmcnt(2)
	v_mul_f64 v[97:98], v[34:35], v[80:81]
	v_mul_f64 v[80:81], v[32:33], v[80:81]
	v_add_co_u32 v72, vcc_lo, v123, v73
	v_add_co_ci_u32_e32 v73, vcc_lo, v124, v74, vcc_lo
	v_add_nc_u32_e32 v74, v75, v121
	v_mov_b32_e32 v116, v119
	v_mul_f64 v[119:120], v[30:31], v[78:79]
	v_mul_f64 v[78:79], v[28:29], v[78:79]
	v_lshlrev_b64 v[60:61], 4, v[60:61]
	v_fma_f64 v[36:37], v[12:13], v[36:37], -v[95:96]
	v_fma_f64 v[12:13], v[12:13], v[38:39], v[76:77]
	s_waitcnt vmcnt(0)
	v_mul_f64 v[76:77], v[91:92], v[82:83]
	s_waitcnt lgkmcnt(1)
	v_mul_f64 v[121:122], v[26:27], v[18:19]
	v_mul_f64 v[18:19], v[24:25], v[18:19]
	;; [unrolled: 1-line block ×3, first 2 shown]
	s_waitcnt lgkmcnt(0)
	v_mul_f64 v[38:39], v[22:23], v[40:41]
	v_mul_f64 v[40:41], v[20:21], v[40:41]
	v_lshlrev_b64 v[106:107], 4, v[107:108]
	v_add_co_u32 v60, vcc_lo, v123, v60
	v_fma_f64 v[32:33], v[4:5], v[32:33], -v[97:98]
	v_fma_f64 v[4:5], v[4:5], v[34:35], v[80:81]
	v_mul_f64 v[34:35], v[87:88], v[42:43]
	v_mul_f64 v[42:43], v[85:86], v[42:43]
	v_lshlrev_b64 v[111:112], 4, v[111:112]
	v_add_co_ci_u32_e32 v61, vcc_lo, v124, v61, vcc_lo
	v_add_co_u32 v95, vcc_lo, v123, v106
	v_fma_f64 v[28:29], v[14:15], v[28:29], -v[119:120]
	v_fma_f64 v[14:15], v[14:15], v[30:31], v[78:79]
	v_lshlrev_b64 v[113:114], 4, v[113:114]
	v_add_co_ci_u32_e32 v96, vcc_lo, v124, v107, vcc_lo
	v_fma_f64 v[24:25], v[2:3], v[24:25], -v[121:122]
	v_fma_f64 v[2:3], v[2:3], v[26:27], v[18:19]
	v_add_f64 v[18:19], v[50:51], v[58:59]
	v_fma_f64 v[20:21], v[8:9], v[20:21], -v[38:39]
	v_fma_f64 v[8:9], v[8:9], v[22:23], v[40:41]
	v_add_f64 v[22:23], v[46:47], v[12:13]
	v_add_f64 v[26:27], v[48:49], v[56:57]
	;; [unrolled: 1-line block ×3, first 2 shown]
	v_add_f64 v[36:37], v[44:45], -v[36:37]
	v_add_f64 v[40:41], v[4:5], v[66:67]
	v_fma_f64 v[30:31], v[10:11], v[85:86], -v[34:35]
	v_fma_f64 v[34:35], v[6:7], v[89:90], -v[76:77]
	v_fma_f64 v[10:11], v[10:11], v[87:88], v[42:43]
	v_fma_f64 v[6:7], v[6:7], v[91:92], v[82:83]
	v_add_f64 v[42:43], v[48:49], -v[56:57]
	v_add_f64 v[48:49], v[32:33], -v[62:63]
	;; [unrolled: 1-line block ×4, first 2 shown]
	v_add_f64 v[32:33], v[32:33], v[62:63]
	v_add_f64 v[44:45], v[50:51], -v[58:59]
	v_add_co_u32 v97, vcc_lo, v123, v111
	v_add_f64 v[66:67], v[24:25], -v[52:53]
	v_add_f64 v[58:59], v[2:3], v[54:55]
	v_add_f64 v[24:25], v[24:25], v[52:53]
	v_add_f64 v[50:51], v[20:21], -v[28:29]
	v_add_f64 v[62:63], v[8:9], v[14:15]
	v_add_f64 v[20:21], v[20:21], v[28:29]
	v_add_f64 v[8:9], v[8:9], -v[14:15]
	v_add_f64 v[14:15], v[26:27], v[38:39]
	v_add_f64 v[2:3], v[2:3], -v[54:55]
	v_add_f64 v[52:53], v[40:41], -v[22:23]
	v_add_co_ci_u32_e32 v98, vcc_lo, v124, v112, vcc_lo
	v_add_f64 v[46:47], v[34:35], -v[30:31]
	v_add_f64 v[76:77], v[6:7], v[10:11]
	v_add_f64 v[6:7], v[6:7], -v[10:11]
	v_add_f64 v[10:11], v[18:19], v[22:23]
	v_add_f64 v[28:29], v[34:35], v[30:31]
	;; [unrolled: 1-line block ×4, first 2 shown]
	v_add_f64 v[34:35], v[18:19], -v[40:41]
	v_add_f64 v[78:79], v[42:43], -v[48:49]
	;; [unrolled: 1-line block ×7, first 2 shown]
	v_add_f64 v[86:87], v[58:59], v[62:63]
	v_add_f64 v[88:89], v[24:25], v[20:21]
	v_add_f64 v[22:23], v[44:45], -v[4:5]
	v_add_f64 v[4:5], v[4:5], -v[12:13]
	;; [unrolled: 1-line block ×4, first 2 shown]
	v_add_f64 v[14:15], v[32:33], v[14:15]
	v_add_co_u32 v56, vcc_lo, v123, v113
	v_add_f64 v[38:39], v[46:47], v[50:51]
	v_add_f64 v[106:107], v[6:7], v[8:9]
	;; [unrolled: 1-line block ×3, first 2 shown]
	v_add_co_ci_u32_e32 v57, vcc_lo, v124, v114, vcc_lo
	v_add_f64 v[90:91], v[66:67], -v[46:47]
	v_add_f64 v[46:47], v[46:47], -v[50:51]
	;; [unrolled: 1-line block ×11, first 2 shown]
	v_add_f64 v[44:45], v[44:45], v[54:55]
	v_add_f64 v[54:55], v[76:77], v[86:87]
	;; [unrolled: 1-line block ×3, first 2 shown]
	v_add_f64 v[50:51], v[50:51], -v[66:67]
	ds_read_b64 v[74:75], v74
	v_add_f64 v[30:31], v[42:43], v[30:31]
	v_mul_f64 v[40:41], v[34:35], s[8:9]
	v_mul_f64 v[42:43], v[52:53], s[24:25]
	;; [unrolled: 1-line block ×8, first 2 shown]
	v_add_f64 v[38:39], v[66:67], v[38:39]
	v_add_f64 v[66:67], v[2:3], v[106:107]
	;; [unrolled: 1-line block ×4, first 2 shown]
	v_lshlrev_b64 v[80:81], 4, v[115:116]
	v_mul_f64 v[46:47], v[46:47], s[26:27]
	v_mul_f64 v[16:17], v[111:112], s[8:9]
	v_mul_f64 v[62:63], v[62:63], s[24:25]
	v_mul_f64 v[20:21], v[20:21], s[24:25]
	v_mul_f64 v[115:116], v[6:7], s[26:27]
	v_mul_f64 v[119:120], v[8:9], s[16:17]
	v_mul_f64 v[121:122], v[113:114], s[8:9]
	s_waitcnt lgkmcnt(0)
	v_add_f64 v[6:7], v[74:75], v[54:55]
	v_add_f64 v[4:5], v[64:65], v[28:29]
	v_mul_f64 v[106:107], v[50:51], s[16:17]
	v_fma_f64 v[34:35], v[34:35], s[8:9], v[42:43]
	v_fma_f64 v[40:41], v[18:19], s[14:15], -v[40:41]
	v_fma_f64 v[18:19], v[18:19], s[6:7], -v[42:43]
	;; [unrolled: 1-line block ×3, first 2 shown]
	v_fma_f64 v[52:53], v[78:79], s[20:21], v[48:49]
	v_fma_f64 v[36:37], v[36:37], s[16:17], -v[48:49]
	v_fma_f64 v[48:49], v[82:83], s[8:9], v[76:77]
	v_fma_f64 v[64:65], v[22:23], s[20:21], v[88:89]
	v_fma_f64 v[74:75], v[26:27], s[14:15], -v[84:85]
	v_fma_f64 v[22:23], v[22:23], s[22:23], -v[86:87]
	;; [unrolled: 1-line block ×4, first 2 shown]
	v_fma_f64 v[10:11], v[10:11], s[18:19], v[2:3]
	v_fma_f64 v[14:15], v[14:15], s[18:19], v[0:1]
	;; [unrolled: 1-line block ×3, first 2 shown]
	v_fma_f64 v[46:47], v[50:51], s[16:17], -v[46:47]
	v_fma_f64 v[50:51], v[111:112], s[8:9], v[62:63]
	v_fma_f64 v[82:83], v[32:33], s[22:23], -v[119:120]
	v_fma_f64 v[32:33], v[32:33], s[20:21], v[115:116]
	v_fma_f64 v[84:85], v[113:114], s[8:9], v[20:21]
	v_fma_f64 v[16:17], v[58:59], s[14:15], -v[16:17]
	v_fma_f64 v[86:87], v[24:25], s[14:15], -v[121:122]
	v_fma_f64 v[54:55], v[54:55], s[18:19], v[6:7]
	v_fma_f64 v[58:59], v[58:59], s[6:7], -v[62:63]
	v_fma_f64 v[20:21], v[24:25], s[6:7], -v[20:21]
	;; [unrolled: 3-line block ×3, first 2 shown]
	v_fma_f64 v[28:29], v[30:31], s[4:5], v[52:53]
	v_fma_f64 v[52:53], v[44:45], s[4:5], v[64:65]
	;; [unrolled: 1-line block ×6, first 2 shown]
	v_add_f64 v[34:35], v[34:35], v[10:11]
	v_add_f64 v[36:37], v[48:49], v[14:15]
	;; [unrolled: 1-line block ×6, first 2 shown]
	v_fma_f64 v[64:65], v[38:39], s[4:5], v[78:79]
	v_fma_f64 v[32:33], v[66:67], s[4:5], v[32:33]
	;; [unrolled: 1-line block ×3, first 2 shown]
	v_mov_b32_e32 v69, v101
	v_add_f64 v[78:79], v[50:51], v[54:55]
	v_add_f64 v[50:51], v[16:17], v[54:55]
	;; [unrolled: 1-line block ×4, first 2 shown]
	v_fma_f64 v[74:75], v[38:39], s[4:5], v[76:77]
	v_fma_f64 v[76:77], v[66:67], s[4:5], v[82:83]
	v_add_f64 v[82:83], v[86:87], v[24:25]
	v_fma_f64 v[66:67], v[66:67], s[4:5], v[8:9]
	v_add_f64 v[84:85], v[20:21], v[24:25]
	v_lshlrev_b64 v[68:69], 4, v[68:69]
	v_lshlrev_b64 v[70:71], 4, v[70:71]
	v_add_f64 v[10:11], v[28:29], v[34:35]
	v_add_f64 v[8:9], v[36:37], -v[52:53]
	v_add_f64 v[16:17], v[30:31], v[26:27]
	v_add_f64 v[20:21], v[26:27], -v[30:31]
	v_add_f64 v[30:31], v[34:35], -v[28:29]
	v_add_f64 v[28:29], v[52:53], v[36:37]
	v_add_f64 v[26:27], v[40:41], -v[42:43]
	v_add_f64 v[24:25], v[62:63], v[44:45]
	;; [unrolled: 2-line block ×3, first 2 shown]
	v_add_f64 v[14:15], v[42:43], v[40:41]
	v_add_f64 v[12:13], v[44:45], -v[62:63]
	v_add_f64 v[42:43], v[54:55], -v[46:47]
	v_add_f64 v[46:47], v[46:47], v[54:55]
	v_add_f64 v[54:55], v[78:79], -v[64:65]
	v_add_f64 v[52:53], v[32:33], v[58:59]
	v_add_f64 v[38:39], v[74:75], v[50:51]
	v_add_f64 v[50:51], v[50:51], -v[74:75]
	v_add_f64 v[48:49], v[76:77], v[82:83]
	v_add_f64 v[44:45], v[84:85], -v[66:67]
	;; [unrolled: 2-line block ×4, first 2 shown]
	v_add_co_u32 v68, vcc_lo, v123, v68
	v_add_co_ci_u32_e32 v69, vcc_lo, v124, v69, vcc_lo
	v_add_co_u32 v58, vcc_lo, v123, v70
	v_add_co_ci_u32_e32 v59, vcc_lo, v124, v71, vcc_lo
	;; [unrolled: 2-line block ×3, first 2 shown]
	global_store_dwordx4 v[93:94], v[0:3], off
	global_store_dwordx4 v[99:100], v[28:31], off
	;; [unrolled: 1-line block ×14, first 2 shown]
.LBB0_15:
	s_endpgm
	.section	.rodata,"a",@progbits
	.p2align	6, 0x0
	.amdhsa_kernel fft_rtc_fwd_len784_factors_2_2_2_2_7_7_wgs_56_tpt_56_halfLds_dp_op_CI_CI_sbrr_dirReg
		.amdhsa_group_segment_fixed_size 0
		.amdhsa_private_segment_fixed_size 0
		.amdhsa_kernarg_size 104
		.amdhsa_user_sgpr_count 6
		.amdhsa_user_sgpr_private_segment_buffer 1
		.amdhsa_user_sgpr_dispatch_ptr 0
		.amdhsa_user_sgpr_queue_ptr 0
		.amdhsa_user_sgpr_kernarg_segment_ptr 1
		.amdhsa_user_sgpr_dispatch_id 0
		.amdhsa_user_sgpr_flat_scratch_init 0
		.amdhsa_user_sgpr_private_segment_size 0
		.amdhsa_wavefront_size32 1
		.amdhsa_uses_dynamic_stack 0
		.amdhsa_system_sgpr_private_segment_wavefront_offset 0
		.amdhsa_system_sgpr_workgroup_id_x 1
		.amdhsa_system_sgpr_workgroup_id_y 0
		.amdhsa_system_sgpr_workgroup_id_z 0
		.amdhsa_system_sgpr_workgroup_info 0
		.amdhsa_system_vgpr_workitem_id 0
		.amdhsa_next_free_vgpr 127
		.amdhsa_next_free_sgpr 31
		.amdhsa_reserve_vcc 1
		.amdhsa_reserve_flat_scratch 0
		.amdhsa_float_round_mode_32 0
		.amdhsa_float_round_mode_16_64 0
		.amdhsa_float_denorm_mode_32 3
		.amdhsa_float_denorm_mode_16_64 3
		.amdhsa_dx10_clamp 1
		.amdhsa_ieee_mode 1
		.amdhsa_fp16_overflow 0
		.amdhsa_workgroup_processor_mode 1
		.amdhsa_memory_ordered 1
		.amdhsa_forward_progress 0
		.amdhsa_shared_vgpr_count 0
		.amdhsa_exception_fp_ieee_invalid_op 0
		.amdhsa_exception_fp_denorm_src 0
		.amdhsa_exception_fp_ieee_div_zero 0
		.amdhsa_exception_fp_ieee_overflow 0
		.amdhsa_exception_fp_ieee_underflow 0
		.amdhsa_exception_fp_ieee_inexact 0
		.amdhsa_exception_int_div_zero 0
	.end_amdhsa_kernel
	.text
.Lfunc_end0:
	.size	fft_rtc_fwd_len784_factors_2_2_2_2_7_7_wgs_56_tpt_56_halfLds_dp_op_CI_CI_sbrr_dirReg, .Lfunc_end0-fft_rtc_fwd_len784_factors_2_2_2_2_7_7_wgs_56_tpt_56_halfLds_dp_op_CI_CI_sbrr_dirReg
                                        ; -- End function
	.section	.AMDGPU.csdata,"",@progbits
; Kernel info:
; codeLenInByte = 11148
; NumSgprs: 33
; NumVgprs: 127
; ScratchSize: 0
; MemoryBound: 1
; FloatMode: 240
; IeeeMode: 1
; LDSByteSize: 0 bytes/workgroup (compile time only)
; SGPRBlocks: 4
; VGPRBlocks: 15
; NumSGPRsForWavesPerEU: 33
; NumVGPRsForWavesPerEU: 127
; Occupancy: 8
; WaveLimiterHint : 1
; COMPUTE_PGM_RSRC2:SCRATCH_EN: 0
; COMPUTE_PGM_RSRC2:USER_SGPR: 6
; COMPUTE_PGM_RSRC2:TRAP_HANDLER: 0
; COMPUTE_PGM_RSRC2:TGID_X_EN: 1
; COMPUTE_PGM_RSRC2:TGID_Y_EN: 0
; COMPUTE_PGM_RSRC2:TGID_Z_EN: 0
; COMPUTE_PGM_RSRC2:TIDIG_COMP_CNT: 0
	.text
	.p2alignl 6, 3214868480
	.fill 48, 4, 3214868480
	.type	__hip_cuid_7763661f0b58e083,@object ; @__hip_cuid_7763661f0b58e083
	.section	.bss,"aw",@nobits
	.globl	__hip_cuid_7763661f0b58e083
__hip_cuid_7763661f0b58e083:
	.byte	0                               ; 0x0
	.size	__hip_cuid_7763661f0b58e083, 1

	.ident	"AMD clang version 19.0.0git (https://github.com/RadeonOpenCompute/llvm-project roc-6.4.0 25133 c7fe45cf4b819c5991fe208aaa96edf142730f1d)"
	.section	".note.GNU-stack","",@progbits
	.addrsig
	.addrsig_sym __hip_cuid_7763661f0b58e083
	.amdgpu_metadata
---
amdhsa.kernels:
  - .args:
      - .actual_access:  read_only
        .address_space:  global
        .offset:         0
        .size:           8
        .value_kind:     global_buffer
      - .offset:         8
        .size:           8
        .value_kind:     by_value
      - .actual_access:  read_only
        .address_space:  global
        .offset:         16
        .size:           8
        .value_kind:     global_buffer
      - .actual_access:  read_only
        .address_space:  global
        .offset:         24
        .size:           8
        .value_kind:     global_buffer
      - .actual_access:  read_only
        .address_space:  global
        .offset:         32
        .size:           8
        .value_kind:     global_buffer
      - .offset:         40
        .size:           8
        .value_kind:     by_value
      - .actual_access:  read_only
        .address_space:  global
        .offset:         48
        .size:           8
        .value_kind:     global_buffer
      - .actual_access:  read_only
        .address_space:  global
        .offset:         56
        .size:           8
        .value_kind:     global_buffer
      - .offset:         64
        .size:           4
        .value_kind:     by_value
      - .actual_access:  read_only
        .address_space:  global
        .offset:         72
        .size:           8
        .value_kind:     global_buffer
      - .actual_access:  read_only
        .address_space:  global
        .offset:         80
        .size:           8
        .value_kind:     global_buffer
      - .actual_access:  read_only
        .address_space:  global
        .offset:         88
        .size:           8
        .value_kind:     global_buffer
      - .actual_access:  write_only
        .address_space:  global
        .offset:         96
        .size:           8
        .value_kind:     global_buffer
    .group_segment_fixed_size: 0
    .kernarg_segment_align: 8
    .kernarg_segment_size: 104
    .language:       OpenCL C
    .language_version:
      - 2
      - 0
    .max_flat_workgroup_size: 56
    .name:           fft_rtc_fwd_len784_factors_2_2_2_2_7_7_wgs_56_tpt_56_halfLds_dp_op_CI_CI_sbrr_dirReg
    .private_segment_fixed_size: 0
    .sgpr_count:     33
    .sgpr_spill_count: 0
    .symbol:         fft_rtc_fwd_len784_factors_2_2_2_2_7_7_wgs_56_tpt_56_halfLds_dp_op_CI_CI_sbrr_dirReg.kd
    .uniform_work_group_size: 1
    .uses_dynamic_stack: false
    .vgpr_count:     127
    .vgpr_spill_count: 0
    .wavefront_size: 32
    .workgroup_processor_mode: 1
amdhsa.target:   amdgcn-amd-amdhsa--gfx1030
amdhsa.version:
  - 1
  - 2
...

	.end_amdgpu_metadata
